;; amdgpu-corpus repo=ROCm/rocFFT kind=compiled arch=gfx1030 opt=O3
	.text
	.amdgcn_target "amdgcn-amd-amdhsa--gfx1030"
	.amdhsa_code_object_version 6
	.protected	fft_rtc_fwd_len240_factors_5_3_4_4_wgs_240_tpt_20_dim3_sp_ip_CI_sbcc_twdbase8_2step_dirReg ; -- Begin function fft_rtc_fwd_len240_factors_5_3_4_4_wgs_240_tpt_20_dim3_sp_ip_CI_sbcc_twdbase8_2step_dirReg
	.globl	fft_rtc_fwd_len240_factors_5_3_4_4_wgs_240_tpt_20_dim3_sp_ip_CI_sbcc_twdbase8_2step_dirReg
	.p2align	8
	.type	fft_rtc_fwd_len240_factors_5_3_4_4_wgs_240_tpt_20_dim3_sp_ip_CI_sbcc_twdbase8_2step_dirReg,@function
fft_rtc_fwd_len240_factors_5_3_4_4_wgs_240_tpt_20_dim3_sp_ip_CI_sbcc_twdbase8_2step_dirReg: ; @fft_rtc_fwd_len240_factors_5_3_4_4_wgs_240_tpt_20_dim3_sp_ip_CI_sbcc_twdbase8_2step_dirReg
; %bb.0:
	s_load_dwordx4 s[0:3], s[4:5], 0x10
	s_waitcnt lgkmcnt(0)
	s_load_dwordx2 s[14:15], s[0:1], 0x8
	s_waitcnt lgkmcnt(0)
	s_add_u32 s7, s14, -1
	s_addc_u32 s8, s15, -1
	s_add_u32 s9, 0, 0x55540000
	s_addc_u32 s10, 0, 0x55
	s_mul_hi_u32 s12, s9, -12
	s_add_i32 s10, s10, 0x15555500
	s_sub_i32 s12, s12, s9
	s_mul_i32 s16, s10, -12
	s_mul_i32 s11, s9, -12
	s_add_i32 s12, s12, s16
	s_mul_hi_u32 s13, s9, s11
	s_mul_i32 s18, s9, s12
	s_mul_hi_u32 s16, s9, s12
	s_mul_hi_u32 s17, s10, s11
	s_mul_i32 s11, s10, s11
	s_add_u32 s13, s13, s18
	s_addc_u32 s16, 0, s16
	s_mul_hi_u32 s19, s10, s12
	s_add_u32 s11, s13, s11
	s_mul_i32 s12, s10, s12
	s_addc_u32 s11, s16, s17
	s_addc_u32 s13, s19, 0
	s_add_u32 s11, s11, s12
	v_add_co_u32 v1, s9, s9, s11
	s_addc_u32 s11, 0, s13
	s_cmp_lg_u32 s9, 0
	s_addc_u32 s9, s10, s11
	v_readfirstlane_b32 s10, v1
	s_mul_i32 s12, s7, s9
	s_mul_hi_u32 s11, s7, s9
	s_mul_hi_u32 s13, s8, s9
	s_mul_i32 s9, s8, s9
	s_mul_hi_u32 s16, s7, s10
	s_mul_hi_u32 s17, s8, s10
	s_mul_i32 s10, s8, s10
	s_add_u32 s12, s16, s12
	s_addc_u32 s11, 0, s11
	s_add_u32 s10, s12, s10
	s_addc_u32 s10, s11, s17
	s_addc_u32 s11, s13, 0
	s_add_u32 s9, s10, s9
	s_addc_u32 s10, 0, s11
	s_mul_i32 s12, s9, 12
	s_add_u32 s11, s9, 1
	v_sub_co_u32 v1, s7, s7, s12
	s_mul_hi_u32 s12, s9, 12
	s_addc_u32 s13, s10, 0
	s_mul_i32 s16, s10, 12
	v_sub_co_u32 v2, s17, v1, 12
	s_add_u32 s18, s9, 2
	s_addc_u32 s19, s10, 0
	s_add_i32 s12, s12, s16
	s_cmp_lg_u32 s7, 0
	v_readfirstlane_b32 s7, v2
	s_subb_u32 s8, s8, s12
	s_cmp_lg_u32 s17, 0
	s_subb_u32 s12, s8, 0
	s_cmp_gt_u32 s7, 11
	s_cselect_b32 s7, -1, 0
	s_cmp_eq_u32 s12, 0
	v_readfirstlane_b32 s12, v1
	s_cselect_b32 s7, s7, -1
	s_cmp_lg_u32 s7, 0
	s_cselect_b32 s11, s18, s11
	s_cselect_b32 s13, s19, s13
	s_cmp_gt_u32 s12, 11
	s_mov_b64 s[18:19], 0
	s_cselect_b32 s7, -1, 0
	s_cmp_eq_u32 s8, 0
	s_cselect_b32 s7, s7, -1
	s_cmp_lg_u32 s7, 0
	s_mov_b32 s7, 0
	s_cselect_b32 s8, s11, s9
	s_cselect_b32 s9, s13, s10
	s_add_u32 s16, s8, 1
	s_addc_u32 s17, s9, 0
	v_cmp_lt_u64_e64 s8, s[6:7], s[16:17]
	s_and_b32 vcc_lo, exec_lo, s8
	s_cbranch_vccnz .LBB0_2
; %bb.1:
	v_cvt_f32_u32_e32 v1, s16
	s_sub_i32 s9, 0, s16
	s_mov_b32 s19, s7
	v_rcp_iflag_f32_e32 v1, v1
	v_mul_f32_e32 v1, 0x4f7ffffe, v1
	v_cvt_u32_f32_e32 v1, v1
	v_readfirstlane_b32 s8, v1
	s_mul_i32 s9, s9, s8
	s_mul_hi_u32 s9, s8, s9
	s_add_i32 s8, s8, s9
	s_mul_hi_u32 s8, s6, s8
	s_mul_i32 s9, s8, s16
	s_add_i32 s10, s8, 1
	s_sub_i32 s9, s6, s9
	s_sub_i32 s11, s9, s16
	s_cmp_ge_u32 s9, s16
	s_cselect_b32 s8, s10, s8
	s_cselect_b32 s9, s11, s9
	s_add_i32 s10, s8, 1
	s_cmp_ge_u32 s9, s16
	s_cselect_b32 s18, s10, s8
.LBB0_2:
	s_load_dwordx2 s[22:23], s[0:1], 0x10
	s_load_dwordx2 s[12:13], s[2:3], 0x8
	s_waitcnt lgkmcnt(0)
	v_cmp_lt_u64_e64 s0, s[18:19], s[22:23]
	s_and_b32 vcc_lo, exec_lo, s0
	s_mov_b64 s[0:1], s[18:19]
	s_cbranch_vccnz .LBB0_4
; %bb.3:
	v_cvt_f32_u32_e32 v1, s22
	s_sub_i32 s1, 0, s22
	v_rcp_iflag_f32_e32 v1, v1
	v_mul_f32_e32 v1, 0x4f7ffffe, v1
	v_cvt_u32_f32_e32 v1, v1
	v_readfirstlane_b32 s0, v1
	s_mul_i32 s1, s1, s0
	s_mul_hi_u32 s1, s0, s1
	s_add_i32 s0, s0, s1
	s_mul_hi_u32 s0, s18, s0
	s_mul_i32 s0, s0, s22
	s_sub_i32 s0, s18, s0
	s_sub_i32 s1, s0, s22
	s_cmp_ge_u32 s0, s22
	s_cselect_b32 s0, s1, s0
	s_sub_i32 s1, s0, s22
	s_cmp_ge_u32 s0, s22
	s_cselect_b32 s0, s1, s0
.LBB0_4:
	s_load_dwordx2 s[10:11], s[4:5], 0x50
	s_clause 0x1
	s_load_dwordx2 s[8:9], s[2:3], 0x0
	s_load_dwordx2 s[20:21], s[2:3], 0x10
	s_mul_i32 s1, s22, s17
	s_mul_hi_u32 s19, s22, s16
	s_mul_i32 s24, s22, s16
	s_add_i32 s1, s19, s1
	s_mul_i32 s19, s23, s16
	s_mov_b64 s[22:23], 0
	s_add_i32 s25, s1, s19
	v_cmp_lt_u64_e64 s1, s[6:7], s[24:25]
	s_and_b32 vcc_lo, exec_lo, s1
	s_cbranch_vccnz .LBB0_6
; %bb.5:
	v_cvt_f32_u32_e32 v1, s24
	s_sub_i32 s7, 0, s24
	v_rcp_iflag_f32_e32 v1, v1
	v_mul_f32_e32 v1, 0x4f7ffffe, v1
	v_cvt_u32_f32_e32 v1, v1
	v_readfirstlane_b32 s1, v1
	s_mul_i32 s7, s7, s1
	s_mul_hi_u32 s7, s1, s7
	s_add_i32 s1, s1, s7
	s_mul_hi_u32 s1, s6, s1
	s_mul_i32 s7, s1, s24
	s_add_i32 s19, s1, 1
	s_sub_i32 s7, s6, s7
	s_sub_i32 s22, s7, s24
	s_cmp_ge_u32 s7, s24
	s_cselect_b32 s1, s19, s1
	s_cselect_b32 s7, s22, s7
	s_add_i32 s19, s1, 1
	s_cmp_ge_u32 s7, s24
	s_cselect_b32 s22, s19, s1
.LBB0_6:
	s_load_dwordx2 s[2:3], s[2:3], 0x18
	s_mul_i32 s1, s18, s17
	s_mul_hi_u32 s7, s18, s16
	v_mul_u32_u24_e32 v1, 0x1556, v0
	s_mul_i32 s16, s18, s16
	s_add_i32 s7, s7, s1
	s_sub_u32 s1, s6, s16
	s_subb_u32 s6, 0, s7
	v_lshrrev_b32_e32 v35, 16, v1
	s_mul_i32 s6, s6, 12
	s_mul_hi_u32 s7, s1, 12
	s_waitcnt lgkmcnt(0)
	s_mul_hi_u32 s17, s20, s0
	s_add_i32 s7, s7, s6
	s_mul_i32 s6, s1, 12
	s_mul_i32 s1, s12, s7
	s_mul_hi_u32 s16, s12, s6
	v_mul_lo_u16 v1, v35, 12
	s_add_i32 s1, s16, s1
	s_mul_i32 s16, s13, s6
	s_mul_i32 s18, s12, s6
	s_add_i32 s1, s1, s16
	s_mul_i32 s16, s21, s0
	s_mul_i32 s0, s20, s0
	v_sub_nc_u16 v1, v0, v1
	s_add_i32 s17, s17, s16
	s_mul_i32 s3, s3, s22
	s_mul_hi_u32 s16, s2, s22
	s_add_u32 s0, s0, s18
	s_mul_i32 s2, s2, s22
	s_addc_u32 s1, s17, s1
	s_add_i32 s16, s16, s3
	s_add_u32 s2, s2, s0
	s_addc_u32 s3, s16, s1
	v_and_b32_e32 v33, 0xffff, v1
	s_add_u32 s0, s6, 12
	s_addc_u32 s1, s7, 0
	v_cmp_gt_u64_e64 s16, s[0:1], s[14:15]
	v_add_co_u32 v1, s6, s6, v33
	v_cmp_le_u64_e64 s1, s[0:1], s[14:15]
	v_add_co_ci_u32_e64 v2, null, s7, 0, s6
	s_and_b32 vcc_lo, exec_lo, s16
	s_cbranch_vccz .LBB0_14
; %bb.7:
	s_mov_b32 s0, exec_lo
                                        ; implicit-def: $vgpr34
	v_cmpx_le_u64_e64 s[14:15], v[1:2]
	s_xor_b32 s0, exec_lo, s0
; %bb.8:
	v_add_nc_u32_e32 v34, 20, v35
; %bb.9:
	s_or_saveexec_b32 s0, s0
                                        ; implicit-def: $vgpr7
                                        ; implicit-def: $vgpr9
                                        ; implicit-def: $vgpr23
                                        ; implicit-def: $vgpr25
                                        ; implicit-def: $vgpr27
                                        ; implicit-def: $vgpr29
                                        ; implicit-def: $vgpr21
                                        ; implicit-def: $vgpr19
                                        ; implicit-def: $vgpr17
                                        ; implicit-def: $vgpr15
                                        ; implicit-def: $vgpr5
                                        ; implicit-def: $vgpr31
                                        ; implicit-def: $vgpr11
                                        ; implicit-def: $vgpr13
                                        ; implicit-def: $vgpr3
	s_xor_b32 exec_lo, exec_lo, s0
	s_cbranch_execz .LBB0_13
; %bb.10:
	v_mad_u64_u32 v[3:4], null, s12, v33, 0
	v_mad_u64_u32 v[5:6], null, s8, v35, 0
	v_add_nc_u32_e32 v12, 48, v35
	v_or_b32_e32 v15, 0x60, v35
	s_lshl_b64 s[6:7], s[2:3], 3
	v_add_nc_u32_e32 v16, 0x90, v35
	s_add_u32 s6, s10, s6
	v_mad_u64_u32 v[7:8], null, s8, v12, 0
	v_mad_u64_u32 v[9:10], null, s13, v33, v[4:5]
	v_mov_b32_e32 v4, v6
	s_addc_u32 s7, s11, s7
	v_mad_u64_u32 v[13:14], null, s8, v16, 0
	v_mov_b32_e32 v6, v8
	v_mad_u64_u32 v[10:11], null, s9, v35, v[4:5]
	v_mov_b32_e32 v4, v9
	v_or_b32_e32 v17, 0xc0, v35
	v_mad_u64_u32 v[8:9], null, s9, v12, v[6:7]
	v_mad_u64_u32 v[11:12], null, s8, v15, 0
	v_lshlrev_b64 v[3:4], 3, v[3:4]
	v_mov_b32_e32 v6, v10
	v_add_nc_u32_e32 v34, 20, v35
	v_add_nc_u32_e32 v21, 0x44, v35
	;; [unrolled: 1-line block ×3, first 2 shown]
	v_add_co_u32 v22, vcc_lo, s6, v3
	v_add_co_ci_u32_e32 v24, vcc_lo, s7, v4, vcc_lo
	v_lshlrev_b64 v[3:4], 3, v[5:6]
	v_lshlrev_b64 v[6:7], 3, v[7:8]
	v_mov_b32_e32 v5, v12
	v_mov_b32_e32 v8, v14
	v_mad_u64_u32 v[19:20], null, s8, v21, 0
	v_add_co_u32 v3, vcc_lo, v22, v3
	v_mad_u64_u32 v[9:10], null, s9, v15, v[5:6]
	v_add_co_ci_u32_e32 v4, vcc_lo, v24, v4, vcc_lo
	v_add_co_u32 v5, vcc_lo, v22, v6
	v_add_co_ci_u32_e32 v6, vcc_lo, v24, v7, vcc_lo
	v_mad_u64_u32 v[14:15], null, s9, v16, v[8:9]
	v_mad_u64_u32 v[15:16], null, s8, v17, 0
	v_mov_b32_e32 v12, v9
	s_mov_b32 s6, exec_lo
	v_lshlrev_b64 v[8:9], 3, v[11:12]
	v_mov_b32_e32 v7, v16
	v_lshlrev_b64 v[10:11], 3, v[13:14]
	v_mad_u64_u32 v[12:13], null, s9, v17, v[7:8]
	v_mad_u64_u32 v[17:18], null, s8, v34, 0
	v_add_co_u32 v7, vcc_lo, v22, v8
	v_add_co_ci_u32_e32 v8, vcc_lo, v24, v9, vcc_lo
	v_add_co_u32 v9, vcc_lo, v22, v10
	v_add_co_ci_u32_e32 v10, vcc_lo, v24, v11, vcc_lo
	v_mov_b32_e32 v11, v18
	v_mov_b32_e32 v16, v12
	v_mad_u64_u32 v[25:26], null, s9, v34, v[11:12]
	s_clause 0x3
	global_load_dwordx2 v[3:4], v[3:4], off
	global_load_dwordx2 v[13:14], v[5:6], off
	;; [unrolled: 1-line block ×4, first 2 shown]
	v_mad_u64_u32 v[26:27], null, s8, v23, 0
	v_mov_b32_e32 v5, v20
	v_lshlrev_b64 v[9:10], 3, v[15:16]
	v_mov_b32_e32 v18, v25
	v_add_nc_u32_e32 v25, 0xa4, v35
	v_mad_u64_u32 v[5:6], null, s9, v21, v[5:6]
	v_mov_b32_e32 v6, v27
	v_add_nc_u32_e32 v21, 0xd4, v35
	v_mad_u64_u32 v[15:16], null, s8, v25, 0
	v_add_co_u32 v9, vcc_lo, v22, v9
	v_mov_b32_e32 v20, v5
	v_add_co_ci_u32_e32 v10, vcc_lo, v24, v10, vcc_lo
	s_waitcnt vmcnt(0)
	v_mad_u64_u32 v[27:28], null, s9, v23, v[6:7]
	v_mad_u64_u32 v[28:29], null, s8, v21, 0
	v_mov_b32_e32 v6, v16
	v_lshlrev_b64 v[16:17], 3, v[17:18]
                                        ; implicit-def: $vgpr23
	v_mad_u64_u32 v[5:6], null, s9, v25, v[6:7]
	v_mov_b32_e32 v6, v29
	v_add_co_u32 v36, vcc_lo, v22, v16
	v_add_co_ci_u32_e32 v37, vcc_lo, v24, v17, vcc_lo
	v_lshlrev_b64 v[17:18], 3, v[19:20]
	v_mad_u64_u32 v[19:20], null, s9, v21, v[6:7]
	v_mov_b32_e32 v16, v5
	v_lshlrev_b64 v[20:21], 3, v[26:27]
	v_add_co_u32 v17, vcc_lo, v22, v17
	v_lshlrev_b64 v[5:6], 3, v[15:16]
	v_mov_b32_e32 v29, v19
	v_add_co_ci_u32_e32 v18, vcc_lo, v24, v18, vcc_lo
	v_add_co_u32 v19, vcc_lo, v22, v20
	v_lshlrev_b64 v[15:16], 3, v[28:29]
	v_add_co_ci_u32_e32 v20, vcc_lo, v24, v21, vcc_lo
	v_add_co_u32 v25, vcc_lo, v22, v5
	v_add_co_ci_u32_e32 v26, vcc_lo, v24, v6, vcc_lo
	v_add_co_u32 v27, vcc_lo, v22, v15
	v_add_co_ci_u32_e32 v28, vcc_lo, v24, v16, vcc_lo
	s_clause 0x5
	global_load_dwordx2 v[31:32], v[9:10], off
	global_load_dwordx2 v[5:6], v[36:37], off
	;; [unrolled: 1-line block ×6, first 2 shown]
                                        ; implicit-def: $vgpr25
                                        ; implicit-def: $vgpr27
                                        ; implicit-def: $vgpr29
                                        ; implicit-def: $vgpr21
	v_cmpx_gt_u32_e32 0x60, v0
	s_cbranch_execz .LBB0_12
; %bb.11:
	v_add_nc_u32_e32 v38, 40, v35
	v_add_nc_u32_e32 v41, 0x58, v35
	;; [unrolled: 1-line block ×5, first 2 shown]
	v_mad_u64_u32 v[25:26], null, s8, v38, 0
	v_mad_u64_u32 v[27:28], null, s8, v41, 0
	;; [unrolled: 1-line block ×4, first 2 shown]
	v_mov_b32_e32 v21, v26
	v_mov_b32_e32 v23, v28
	v_mad_u64_u32 v[38:39], null, s9, v38, v[21:22]
	v_mov_b32_e32 v21, v30
	v_mad_u64_u32 v[41:42], null, s9, v41, v[23:24]
	v_mad_u64_u32 v[39:40], null, s8, v45, 0
	;; [unrolled: 1-line block ×3, first 2 shown]
	v_mov_b32_e32 v26, v38
	v_mov_b32_e32 v21, v37
	;; [unrolled: 1-line block ×4, first 2 shown]
	v_lshlrev_b64 v[25:26], 3, v[25:26]
	v_mad_u64_u32 v[37:38], null, s9, v44, v[21:22]
	v_mov_b32_e32 v30, v42
	v_lshlrev_b64 v[27:28], 3, v[27:28]
	v_mad_u64_u32 v[40:41], null, s9, v45, v[23:24]
	v_add_co_u32 v25, vcc_lo, v22, v25
	v_lshlrev_b64 v[29:30], 3, v[29:30]
	v_add_co_ci_u32_e32 v26, vcc_lo, v24, v26, vcc_lo
	v_add_co_u32 v27, vcc_lo, v22, v27
	v_lshlrev_b64 v[36:37], 3, v[36:37]
	v_add_co_ci_u32_e32 v28, vcc_lo, v24, v28, vcc_lo
	;; [unrolled: 3-line block ×3, first 2 shown]
	v_add_co_u32 v36, vcc_lo, v22, v36
	v_add_co_ci_u32_e32 v37, vcc_lo, v24, v37, vcc_lo
	v_add_co_u32 v38, vcc_lo, v22, v38
	v_add_co_ci_u32_e32 v39, vcc_lo, v24, v39, vcc_lo
	s_clause 0x4
	global_load_dwordx2 v[21:22], v[25:26], off
	global_load_dwordx2 v[23:24], v[27:28], off
	;; [unrolled: 1-line block ×5, first 2 shown]
.LBB0_12:
	s_or_b32 exec_lo, exec_lo, s6
.LBB0_13:
	s_or_b32 exec_lo, exec_lo, s0
	s_load_dwordx2 s[6:7], s[4:5], 0x0
	v_cmp_gt_u32_e64 s0, 0x60, v0
	s_cbranch_execz .LBB0_15
	s_branch .LBB0_18
.LBB0_14:
                                        ; implicit-def: $vgpr7
                                        ; implicit-def: $vgpr9
                                        ; implicit-def: $vgpr23
                                        ; implicit-def: $vgpr25
                                        ; implicit-def: $vgpr27
                                        ; implicit-def: $vgpr29
                                        ; implicit-def: $vgpr21
                                        ; implicit-def: $vgpr19
                                        ; implicit-def: $vgpr17
                                        ; implicit-def: $vgpr15
                                        ; implicit-def: $vgpr5
                                        ; implicit-def: $vgpr31
                                        ; implicit-def: $vgpr11
                                        ; implicit-def: $vgpr13
                                        ; implicit-def: $vgpr3
                                        ; implicit-def: $vgpr34
	s_load_dwordx2 s[6:7], s[4:5], 0x0
	v_cmp_gt_u32_e64 s0, 0x60, v0
.LBB0_15:
	v_mad_u64_u32 v[3:4], null, s12, v33, 0
	s_waitcnt vmcnt(4)
	v_mad_u64_u32 v[5:6], null, s8, v35, 0
	v_add_nc_u32_e32 v12, 48, v35
	s_waitcnt vmcnt(3)
	v_or_b32_e32 v15, 0x60, v35
	s_lshl_b64 s[16:17], s[2:3], 3
	v_add_nc_u32_e32 v16, 0x90, v35
	s_add_u32 s16, s10, s16
	v_mad_u64_u32 v[7:8], null, s8, v12, 0
	s_waitcnt vmcnt(2)
	v_mad_u64_u32 v[9:10], null, s13, v33, v[4:5]
	v_mov_b32_e32 v4, v6
	s_addc_u32 s17, s11, s17
	v_mad_u64_u32 v[13:14], null, s8, v16, 0
	v_mov_b32_e32 v6, v8
	v_mad_u64_u32 v[10:11], null, s9, v35, v[4:5]
	v_mov_b32_e32 v4, v9
	s_waitcnt vmcnt(1)
	v_or_b32_e32 v17, 0xc0, v35
	v_mad_u64_u32 v[8:9], null, s9, v12, v[6:7]
	v_mad_u64_u32 v[11:12], null, s8, v15, 0
	v_lshlrev_b64 v[3:4], 3, v[3:4]
	v_mov_b32_e32 v6, v10
	v_add_nc_u32_e32 v34, 20, v35
	v_add_nc_u32_e32 v21, 0x44, v35
	v_add_nc_u32_e32 v23, 0x74, v35
	v_add_co_u32 v22, vcc_lo, s16, v3
	v_add_co_ci_u32_e32 v24, vcc_lo, s17, v4, vcc_lo
	v_lshlrev_b64 v[3:4], 3, v[5:6]
	v_lshlrev_b64 v[6:7], 3, v[7:8]
	v_mov_b32_e32 v5, v12
	v_mov_b32_e32 v8, v14
	s_waitcnt vmcnt(0)
	v_mad_u64_u32 v[19:20], null, s8, v21, 0
	v_add_co_u32 v3, vcc_lo, v22, v3
	v_mad_u64_u32 v[9:10], null, s9, v15, v[5:6]
	v_add_co_ci_u32_e32 v4, vcc_lo, v24, v4, vcc_lo
	v_add_co_u32 v5, vcc_lo, v22, v6
	v_add_co_ci_u32_e32 v6, vcc_lo, v24, v7, vcc_lo
	v_mad_u64_u32 v[14:15], null, s9, v16, v[8:9]
	v_mad_u64_u32 v[15:16], null, s8, v17, 0
	v_mov_b32_e32 v12, v9
	v_lshlrev_b64 v[8:9], 3, v[11:12]
	v_mov_b32_e32 v7, v16
	v_lshlrev_b64 v[10:11], 3, v[13:14]
	v_mad_u64_u32 v[12:13], null, s9, v17, v[7:8]
	v_mad_u64_u32 v[17:18], null, s8, v34, 0
	v_add_co_u32 v7, vcc_lo, v22, v8
	v_add_co_ci_u32_e32 v8, vcc_lo, v24, v9, vcc_lo
	v_add_co_u32 v9, vcc_lo, v22, v10
	v_add_co_ci_u32_e32 v10, vcc_lo, v24, v11, vcc_lo
	v_mov_b32_e32 v11, v18
	v_mov_b32_e32 v16, v12
	v_mad_u64_u32 v[25:26], null, s9, v34, v[11:12]
	s_clause 0x3
	global_load_dwordx2 v[3:4], v[3:4], off
	global_load_dwordx2 v[13:14], v[5:6], off
	;; [unrolled: 1-line block ×4, first 2 shown]
	v_mad_u64_u32 v[26:27], null, s8, v23, 0
	v_mov_b32_e32 v5, v20
	v_lshlrev_b64 v[9:10], 3, v[15:16]
	v_mov_b32_e32 v18, v25
	v_add_nc_u32_e32 v25, 0xa4, v35
	v_mad_u64_u32 v[5:6], null, s9, v21, v[5:6]
	v_mov_b32_e32 v6, v27
	v_add_nc_u32_e32 v21, 0xd4, v35
	v_mad_u64_u32 v[15:16], null, s8, v25, 0
	v_add_co_u32 v9, vcc_lo, v22, v9
	v_mov_b32_e32 v20, v5
	v_add_co_ci_u32_e32 v10, vcc_lo, v24, v10, vcc_lo
	s_waitcnt vmcnt(0)
	v_mad_u64_u32 v[27:28], null, s9, v23, v[6:7]
	v_mad_u64_u32 v[28:29], null, s8, v21, 0
	v_mov_b32_e32 v6, v16
	v_lshlrev_b64 v[16:17], 3, v[17:18]
                                        ; implicit-def: $vgpr23
	v_mad_u64_u32 v[5:6], null, s9, v25, v[6:7]
	v_mov_b32_e32 v6, v29
	v_add_co_u32 v36, vcc_lo, v22, v16
	v_add_co_ci_u32_e32 v37, vcc_lo, v24, v17, vcc_lo
	v_lshlrev_b64 v[17:18], 3, v[19:20]
	v_mad_u64_u32 v[19:20], null, s9, v21, v[6:7]
	v_mov_b32_e32 v16, v5
	v_lshlrev_b64 v[20:21], 3, v[26:27]
	v_add_co_u32 v17, vcc_lo, v22, v17
	v_lshlrev_b64 v[5:6], 3, v[15:16]
	v_mov_b32_e32 v29, v19
	v_add_co_ci_u32_e32 v18, vcc_lo, v24, v18, vcc_lo
	v_add_co_u32 v19, vcc_lo, v22, v20
	v_lshlrev_b64 v[15:16], 3, v[28:29]
	v_add_co_ci_u32_e32 v20, vcc_lo, v24, v21, vcc_lo
	v_add_co_u32 v25, vcc_lo, v22, v5
	v_add_co_ci_u32_e32 v26, vcc_lo, v24, v6, vcc_lo
	v_add_co_u32 v27, vcc_lo, v22, v15
	v_add_co_ci_u32_e32 v28, vcc_lo, v24, v16, vcc_lo
	s_clause 0x5
	global_load_dwordx2 v[31:32], v[9:10], off
	global_load_dwordx2 v[5:6], v[36:37], off
	;; [unrolled: 1-line block ×6, first 2 shown]
                                        ; implicit-def: $vgpr25
                                        ; implicit-def: $vgpr27
                                        ; implicit-def: $vgpr29
                                        ; implicit-def: $vgpr21
	s_and_saveexec_b32 s16, s0
	s_cbranch_execz .LBB0_17
; %bb.16:
	v_add_nc_u32_e32 v38, 40, v35
	v_add_nc_u32_e32 v41, 0x58, v35
	v_add_nc_u32_e32 v43, 0x88, v35
	v_add_nc_u32_e32 v44, 0xb8, v35
	v_add_nc_u32_e32 v45, 0xe8, v35
	v_mad_u64_u32 v[25:26], null, s8, v38, 0
	v_mad_u64_u32 v[27:28], null, s8, v41, 0
	;; [unrolled: 1-line block ×4, first 2 shown]
	v_mov_b32_e32 v21, v26
	v_mov_b32_e32 v23, v28
	v_mad_u64_u32 v[38:39], null, s9, v38, v[21:22]
	v_mov_b32_e32 v21, v30
	v_mad_u64_u32 v[41:42], null, s9, v41, v[23:24]
	v_mad_u64_u32 v[39:40], null, s8, v45, 0
	;; [unrolled: 1-line block ×3, first 2 shown]
	v_mov_b32_e32 v26, v38
	v_mov_b32_e32 v21, v37
	;; [unrolled: 1-line block ×4, first 2 shown]
	v_lshlrev_b64 v[25:26], 3, v[25:26]
	v_mad_u64_u32 v[37:38], null, s9, v44, v[21:22]
	v_mov_b32_e32 v30, v42
	v_lshlrev_b64 v[27:28], 3, v[27:28]
	v_mad_u64_u32 v[40:41], null, s9, v45, v[23:24]
	v_add_co_u32 v25, vcc_lo, v22, v25
	v_lshlrev_b64 v[29:30], 3, v[29:30]
	v_add_co_ci_u32_e32 v26, vcc_lo, v24, v26, vcc_lo
	v_add_co_u32 v27, vcc_lo, v22, v27
	v_lshlrev_b64 v[36:37], 3, v[36:37]
	v_add_co_ci_u32_e32 v28, vcc_lo, v24, v28, vcc_lo
	;; [unrolled: 3-line block ×3, first 2 shown]
	v_add_co_u32 v36, vcc_lo, v22, v36
	v_add_co_ci_u32_e32 v37, vcc_lo, v24, v37, vcc_lo
	v_add_co_u32 v38, vcc_lo, v22, v38
	v_add_co_ci_u32_e32 v39, vcc_lo, v24, v39, vcc_lo
	s_clause 0x4
	global_load_dwordx2 v[21:22], v[25:26], off
	global_load_dwordx2 v[23:24], v[27:28], off
	;; [unrolled: 1-line block ×5, first 2 shown]
.LBB0_17:
	s_or_b32 exec_lo, exec_lo, s16
.LBB0_18:
	v_add_f32_e32 v37, v3, v13
	v_add_f32_e32 v36, v7, v11
	s_waitcnt vmcnt(5)
	v_sub_f32_e32 v39, v14, v32
	v_sub_f32_e32 v40, v13, v11
	;; [unrolled: 1-line block ×3, first 2 shown]
	v_add_f32_e32 v37, v37, v11
	v_fma_f32 v36, -0.5, v36, v3
	v_add_f32_e32 v43, v13, v31
	v_sub_f32_e32 v41, v12, v8
	v_add_f32_e32 v45, v40, v42
	v_add_f32_e32 v37, v37, v7
	v_fmamk_f32 v38, v39, 0x3f737871, v36
	v_fmac_f32_e32 v3, -0.5, v43
	v_fmac_f32_e32 v36, 0xbf737871, v39
	v_add_f32_e32 v46, v8, v12
	v_add_f32_e32 v42, v37, v31
	;; [unrolled: 1-line block ×3, first 2 shown]
	v_fmac_f32_e32 v38, 0x3f167918, v41
	v_fmamk_f32 v40, v41, 0xbf737871, v3
	v_fmac_f32_e32 v36, 0xbf167918, v41
	v_fmac_f32_e32 v3, 0x3f737871, v41
	v_add_f32_e32 v41, v37, v12
	v_sub_f32_e32 v44, v11, v13
	v_sub_f32_e32 v43, v7, v31
	v_fma_f32 v37, -0.5, v46, v4
	v_sub_f32_e32 v13, v13, v31
	v_add_f32_e32 v31, v41, v8
	v_add_f32_e32 v41, v14, v32
	v_fmac_f32_e32 v40, 0x3f167918, v39
	v_add_f32_e32 v43, v44, v43
	v_fmac_f32_e32 v3, 0xbf167918, v39
	v_fmamk_f32 v39, v13, 0xbf737871, v37
	v_sub_f32_e32 v7, v11, v7
	v_sub_f32_e32 v11, v14, v12
	;; [unrolled: 1-line block ×3, first 2 shown]
	v_fmac_f32_e32 v4, -0.5, v41
	v_fmac_f32_e32 v37, 0x3f737871, v13
	v_fmac_f32_e32 v40, 0x3e9e377a, v43
	;; [unrolled: 1-line block ×3, first 2 shown]
	v_add_f32_e32 v43, v31, v32
	v_fmac_f32_e32 v39, 0xbf167918, v7
	v_add_f32_e32 v31, v11, v44
	v_fmamk_f32 v41, v7, 0x3f737871, v4
	v_sub_f32_e32 v11, v12, v14
	v_sub_f32_e32 v8, v8, v32
	v_fmac_f32_e32 v37, 0x3f167918, v7
	s_waitcnt vmcnt(1)
	v_add_f32_e32 v12, v9, v17
	v_fmac_f32_e32 v4, 0xbf737871, v7
	v_add_f32_e32 v7, v5, v15
	v_add_f32_e32 v8, v11, v8
	s_waitcnt vmcnt(0)
	v_add_f32_e32 v14, v15, v19
	v_fma_f32 v11, -0.5, v12, v5
	v_sub_f32_e32 v12, v16, v20
	v_add_f32_e32 v7, v7, v9
	v_fmac_f32_e32 v38, 0x3e9e377a, v45
	v_fmac_f32_e32 v36, 0x3e9e377a, v45
	;; [unrolled: 1-line block ×6, first 2 shown]
	v_fmamk_f32 v13, v12, 0x3f737871, v11
	v_sub_f32_e32 v32, v10, v18
	v_sub_f32_e32 v31, v15, v9
	;; [unrolled: 1-line block ×3, first 2 shown]
	v_fmac_f32_e32 v5, -0.5, v14
	v_add_f32_e32 v7, v7, v17
	v_fmac_f32_e32 v11, 0xbf737871, v12
	v_sub_f32_e32 v14, v9, v15
	v_sub_f32_e32 v45, v17, v19
	v_fmac_f32_e32 v41, 0x3e9e377a, v8
	v_fmac_f32_e32 v4, 0x3e9e377a, v8
	;; [unrolled: 1-line block ×3, first 2 shown]
	v_add_f32_e32 v8, v44, v31
	v_fmamk_f32 v31, v32, 0xbf737871, v5
	v_add_f32_e32 v44, v7, v19
	v_fmac_f32_e32 v11, 0xbf167918, v32
	v_add_f32_e32 v7, v45, v14
	v_fmac_f32_e32 v5, 0x3f737871, v32
	v_add_f32_e32 v14, v6, v16
	v_add_f32_e32 v32, v10, v18
	v_fmac_f32_e32 v13, 0x3e9e377a, v8
	v_fmac_f32_e32 v31, 0x3f167918, v12
	;; [unrolled: 1-line block ×4, first 2 shown]
	v_add_f32_e32 v8, v14, v10
	v_add_f32_e32 v14, v16, v20
	v_fma_f32 v12, -0.5, v32, v6
	v_sub_f32_e32 v15, v15, v19
	v_fmac_f32_e32 v31, 0x3e9e377a, v7
	v_fmac_f32_e32 v5, 0x3e9e377a, v7
	v_add_f32_e32 v7, v8, v18
	v_sub_f32_e32 v8, v9, v17
	v_fmac_f32_e32 v6, -0.5, v14
	v_fmamk_f32 v14, v15, 0xbf737871, v12
	v_sub_f32_e32 v9, v16, v10
	v_sub_f32_e32 v17, v20, v18
	v_fmac_f32_e32 v12, 0x3f737871, v15
	v_fmamk_f32 v32, v8, 0x3f737871, v6
	v_sub_f32_e32 v16, v10, v16
	v_sub_f32_e32 v18, v18, v20
	v_fmac_f32_e32 v6, 0xbf737871, v8
	s_mov_b32 s0, 0
	v_add_f32_e32 v45, v7, v20
	v_fmac_f32_e32 v14, 0xbf167918, v8
	v_add_f32_e32 v17, v17, v9
	v_fmac_f32_e32 v12, 0x3f167918, v8
	v_mad_u32_u24 v10, 0x1e0, v35, 0
	v_lshlrev_b32_e32 v9, 3, v33
	v_mad_u64_u32 v[7:8], null, 0x1e0, v34, s[0:1]
	v_fmac_f32_e32 v32, 0xbf167918, v15
	v_add_f32_e32 v8, v18, v16
	v_fmac_f32_e32 v6, 0x3f167918, v15
	v_add_nc_u32_e32 v15, v10, v9
	v_fmac_f32_e32 v14, 0x3e9e377a, v17
	s_mov_b32 s0, exec_lo
	v_fmac_f32_e32 v32, 0x3e9e377a, v8
	v_fmac_f32_e32 v6, 0x3e9e377a, v8
	v_add_nc_u32_e32 v8, v7, v9
	v_fmac_f32_e32 v12, 0x3e9e377a, v17
	ds_write2_b64 v15, v[42:43], v[38:39] offset1:12
	ds_write2_b64 v15, v[40:41], v[3:4] offset0:24 offset1:36
	ds_write_b64 v15, v[36:37] offset:384
	ds_write2_b64 v8, v[44:45], v[13:14] offset1:12
	ds_write2_b64 v8, v[31:32], v[5:6] offset0:24 offset1:36
	ds_write_b64 v8, v[11:12] offset:384
	v_cmpx_gt_u32_e32 0x60, v0
	s_cbranch_execz .LBB0_20
; %bb.19:
	v_add_f32_e32 v4, v21, v23
	v_add_f32_e32 v3, v22, v24
	;; [unrolled: 1-line block ×3, first 2 shown]
	v_sub_f32_e32 v5, v26, v24
	v_sub_f32_e32 v6, v28, v30
	v_add_f32_e32 v4, v25, v4
	v_add_f32_e32 v3, v26, v3
	v_sub_f32_e32 v13, v25, v27
	v_add_f32_e32 v14, v28, v26
	v_sub_f32_e32 v8, v23, v29
	v_add_f32_e32 v12, v27, v4
	v_fma_f32 v4, -0.5, v11, v22
	v_add_f32_e32 v3, v28, v3
	v_add_f32_e32 v11, v6, v5
	v_fmac_f32_e32 v22, -0.5, v14
	v_add_f32_e32 v5, v29, v12
	v_fmamk_f32 v12, v13, 0xbf737871, v4
	v_fmac_f32_e32 v4, 0x3f737871, v13
	v_add_f32_e32 v6, v30, v3
	v_sub_f32_e32 v3, v24, v26
	v_sub_f32_e32 v15, v30, v28
	v_fmamk_f32 v14, v8, 0x3f737871, v22
	v_fmac_f32_e32 v22, 0xbf737871, v8
	v_fmac_f32_e32 v12, 0x3f167918, v8
	;; [unrolled: 1-line block ×3, first 2 shown]
	v_add_f32_e32 v3, v15, v3
	v_fmac_f32_e32 v14, 0x3f167918, v13
	v_fmac_f32_e32 v22, 0xbf167918, v13
	;; [unrolled: 1-line block ×3, first 2 shown]
	v_add_f32_e32 v8, v29, v23
	v_fmac_f32_e32 v4, 0x3e9e377a, v11
	v_add_f32_e32 v11, v27, v25
	v_fmac_f32_e32 v14, 0x3e9e377a, v3
	v_fmac_f32_e32 v22, 0x3e9e377a, v3
	v_fma_f32 v3, -0.5, v8, v21
	v_sub_f32_e32 v16, v24, v30
	v_fmac_f32_e32 v21, -0.5, v11
	v_sub_f32_e32 v8, v26, v28
	v_sub_f32_e32 v15, v25, v23
	;; [unrolled: 1-line block ×5, first 2 shown]
	v_fmamk_f32 v13, v16, 0xbf737871, v21
	v_fmac_f32_e32 v21, 0x3f737871, v16
	v_fmamk_f32 v11, v8, 0x3f737871, v3
	v_fmac_f32_e32 v3, 0xbf737871, v8
	v_add_f32_e32 v15, v17, v15
	v_add_f32_e32 v17, v19, v18
	v_fmac_f32_e32 v21, 0x3f167918, v8
	v_lshl_add_u32 v10, v33, 3, v10
	v_fmac_f32_e32 v11, 0xbf167918, v16
	v_fmac_f32_e32 v3, 0x3f167918, v16
	;; [unrolled: 1-line block ×4, first 2 shown]
	v_add_nc_u32_e32 v8, 0x4800, v10
	v_fmac_f32_e32 v11, 0x3e9e377a, v15
	v_fmac_f32_e32 v3, 0x3e9e377a, v15
	;; [unrolled: 1-line block ×3, first 2 shown]
	ds_write2_b64 v8, v[5:6], v[21:22] offset0:96 offset1:108
	ds_write2_b64 v8, v[3:4], v[11:12] offset0:120 offset1:132
	ds_write_b64 v10, v[13:14] offset:19584
.LBB0_20:
	s_or_b32 exec_lo, exec_lo, s0
	v_mul_lo_u16 v3, v35, 52
	v_and_b32_e32 v5, 0xff, v34
	s_waitcnt lgkmcnt(0)
	s_barrier
	buffer_gl0_inv
	v_lshrrev_b16 v32, 8, v3
	v_mul_lo_u16 v3, 0xcd, v5
	v_mul_lo_u16 v10, v35, 35
	v_mul_lo_u32 v40, 0xfffffe80, v34
	v_mul_lo_u16 v56, 0x89, v5
	v_mul_lo_u16 v4, v32, 5
	v_lshrrev_b16 v48, 10, v3
	v_add_nc_u32_e32 v3, 40, v35
	v_lshrrev_b16 v55, 9, v10
	v_lshrrev_b16 v56, 11, v56
	v_sub_nc_u16 v4, v35, v4
	v_mul_lo_u16 v6, v48, 5
	v_add3_u32 v5, v7, v40, v9
	v_and_b32_e32 v32, 0xffff, v32
	v_mul_lo_u16 v11, 0x89, v3
	v_and_b32_e32 v49, 0xff, v4
	v_mul_lo_u16 v4, 0x67, v3
	v_sub_nc_u16 v6, v34, v6
	v_cmp_gt_u64_e32 vcc_lo, s[14:15], v[1:2]
	v_lshlrev_b32_e32 v8, 4, v49
	v_lshrrev_b16 v50, 9, v4
	v_and_b32_e32 v51, 0xff, v6
	v_mad_u32_u24 v32, v32, 15, v49
	s_or_b32 s0, s1, vcc_lo
	global_load_dwordx4 v[12:15], v8, s[6:7]
	v_mul_lo_u16 v4, v50, 5
	v_lshlrev_b32_e32 v6, 4, v51
	v_sub_nc_u16 v4, v3, v4
	global_load_dwordx4 v[16:19], v6, s[6:7]
	v_and_b32_e32 v52, 0xff, v4
	v_add_nc_u16 v4, v35, 60
	v_lshlrev_b32_e32 v6, 4, v52
	v_mul_lo_u16 v8, 0x67, v4
	global_load_dwordx4 v[20:23], v6, s[6:7]
	v_lshrrev_b16 v53, 9, v8
	v_mul_lo_u16 v6, v53, 5
	v_sub_nc_u16 v4, v4, v6
	v_and_b32_e32 v54, 0xff, v4
	v_lshlrev_b32_e32 v4, 4, v54
	global_load_dwordx4 v[24:27], v4, s[6:7]
	v_mul_u32_u24_e32 v4, 0x60, v35
	v_add3_u32 v4, 0, v4, v9
	v_add_nc_u32_e32 v6, 0x1e00, v4
	v_add_nc_u32_e32 v8, 0x3c00, v4
	ds_read2_b64 v[28:31], v6 offset1:240
	ds_read2_b64 v[36:39], v8 offset1:240
	v_add_nc_u32_e32 v10, 0x2d00, v4
	v_add_nc_u32_e32 v7, 0x4b00, v4
	;; [unrolled: 1-line block ×3, first 2 shown]
	ds_read2_b64 v[40:43], v10 offset1:240
	ds_read2_b64 v[44:47], v7 offset1:240
	s_waitcnt vmcnt(3) lgkmcnt(3)
	v_mul_f32_e32 v58, v13, v29
	v_mul_f32_e32 v59, v13, v28
	s_waitcnt lgkmcnt(2)
	v_mul_f32_e32 v13, v15, v37
	v_mul_f32_e32 v60, v15, v36
	v_fma_f32 v28, v12, v28, -v58
	v_fmac_f32_e32 v59, v12, v29
	s_waitcnt vmcnt(2)
	v_mul_f32_e32 v12, v17, v31
	v_fma_f32 v29, v14, v36, -v13
	v_fmac_f32_e32 v60, v14, v37
	v_mul_f32_e32 v36, v17, v30
	v_mul_f32_e32 v13, v19, v39
	;; [unrolled: 1-line block ×3, first 2 shown]
	v_fma_f32 v30, v16, v30, -v12
	v_mul_lo_u16 v12, v55, 15
	v_fmac_f32_e32 v36, v16, v31
	v_fma_f32 v31, v18, v38, -v13
	v_fmac_f32_e32 v37, v18, v39
	ds_read_b64 v[16:17], v4
	ds_read_b64 v[18:19], v5
	v_sub_nc_u16 v38, v35, v12
	v_lshrrev_b16 v58, 11, v11
	s_waitcnt vmcnt(1) lgkmcnt(3)
	v_mul_f32_e32 v12, v41, v21
	v_mul_f32_e32 v39, v40, v21
	v_mul_lo_u16 v21, v56, 15
	s_waitcnt lgkmcnt(2)
	v_mul_f32_e32 v13, v45, v23
	v_mul_f32_e32 v61, v44, v23
	v_fma_f32 v23, v40, v20, -v12
	v_fmac_f32_e32 v39, v41, v20
	v_sub_nc_u16 v21, v34, v21
	v_fma_f32 v40, v44, v22, -v13
	v_fmac_f32_e32 v61, v45, v22
	v_and_b32_e32 v22, 0xffff, v50
	v_and_b32_e32 v41, 0xff, v38
	;; [unrolled: 1-line block ×4, first 2 shown]
	v_mul_u32_u24_e32 v21, 0x60, v32
	ds_read2_b64 v[12:15], v57 offset1:240
	v_and_b32_e32 v20, 0xffff, v48
	v_mad_u32_u24 v22, v22, 15, v52
	v_mad_u32_u24 v32, v38, 15, v54
	v_mul_u32_u24_e32 v38, 3, v62
	v_add3_u32 v48, 0, v21, v9
	v_mad_u32_u24 v20, v20, 15, v51
	v_mul_u32_u24_e32 v22, 0x60, v22
	v_sub_f32_e32 v52, v39, v61
	v_sub_f32_e32 v54, v23, v40
	v_mul_lo_u16 v44, v58, 15
	s_waitcnt vmcnt(0)
	v_mul_f32_e32 v21, v43, v25
	v_mul_f32_e32 v49, v42, v25
	v_mul_u32_u24_e32 v25, 0x60, v32
	v_lshlrev_b32_e32 v32, 3, v38
	v_mul_u32_u24_e32 v20, 0x60, v20
	v_fma_f32 v38, v42, v24, -v21
	v_mul_f32_e32 v21, v47, v27
	v_fmac_f32_e32 v49, v43, v24
	v_mul_f32_e32 v42, v46, v27
	v_add_f32_e32 v24, v59, v60
	v_add3_u32 v50, 0, v22, v9
	v_fma_f32 v46, v46, v26, -v21
	v_add_f32_e32 v21, v28, v29
	s_waitcnt lgkmcnt(2)
	v_add_f32_e32 v22, v17, v59
	v_add3_u32 v43, 0, v20, v9
	v_fmac_f32_e32 v42, v47, v26
	v_add_f32_e32 v20, v16, v28
	v_fmac_f32_e32 v17, -0.5, v24
	s_waitcnt lgkmcnt(1)
	v_add_f32_e32 v24, v19, v36
	v_sub_f32_e32 v26, v28, v29
	v_fma_f32 v16, -0.5, v21, v16
	v_add_f32_e32 v21, v22, v60
	v_add_f32_e32 v22, v18, v30
	;; [unrolled: 1-line block ×4, first 2 shown]
	v_sub_f32_e32 v47, v36, v37
	v_sub_f32_e32 v36, v30, v31
	v_add_f32_e32 v30, v23, v40
	s_waitcnt lgkmcnt(0)
	v_add_f32_e32 v53, v13, v39
	v_add_f32_e32 v39, v39, v61
	v_add3_u32 v51, 0, v25, v9
	v_sub_f32_e32 v25, v59, v60
	v_add_f32_e32 v20, v20, v29
	v_add_f32_e32 v29, v12, v23
	;; [unrolled: 1-line block ×7, first 2 shown]
	v_fma_f32 v18, -0.5, v27, v18
	v_fmac_f32_e32 v19, -0.5, v28
	v_fma_f32 v12, -0.5, v30, v12
	v_fma_f32 v13, -0.5, v39, v13
	v_add_f32_e32 v59, v14, v38
	v_fmamk_f32 v24, v25, 0x3f5db3d7, v16
	v_fmac_f32_e32 v16, 0xbf5db3d7, v25
	v_sub_f32_e32 v63, v49, v42
	v_fmamk_f32 v25, v26, 0xbf5db3d7, v17
	v_sub_f32_e32 v49, v38, v46
	v_fma_f32 v14, -0.5, v60, v14
	v_fmac_f32_e32 v15, -0.5, v37
	v_fmac_f32_e32 v17, 0x3f5db3d7, v26
	v_mul_u32_u24_e32 v45, 3, v41
	v_add_f32_e32 v26, v29, v40
	v_add_f32_e32 v29, v31, v42
	v_fmamk_f32 v30, v47, 0x3f5db3d7, v18
	v_fmamk_f32 v31, v36, 0xbf5db3d7, v19
	v_fmac_f32_e32 v18, 0xbf5db3d7, v47
	v_fmac_f32_e32 v19, 0x3f5db3d7, v36
	v_add_f32_e32 v27, v53, v61
	v_fmamk_f32 v36, v52, 0x3f5db3d7, v12
	v_fmamk_f32 v37, v54, 0xbf5db3d7, v13
	s_barrier
	buffer_gl0_inv
	v_add_f32_e32 v28, v59, v46
	v_fmac_f32_e32 v12, 0xbf5db3d7, v52
	v_fmac_f32_e32 v13, 0x3f5db3d7, v54
	v_fmamk_f32 v38, v63, 0x3f5db3d7, v14
	v_fmac_f32_e32 v14, 0xbf5db3d7, v63
	v_fmamk_f32 v39, v49, 0xbf5db3d7, v15
	v_fmac_f32_e32 v15, 0x3f5db3d7, v49
	ds_write2_b64 v48, v[20:21], v[24:25] offset1:60
	ds_write_b64 v48, v[16:17] offset:960
	ds_write2_b64 v43, v[22:23], v[30:31] offset1:60
	ds_write_b64 v43, v[18:19] offset:960
	;; [unrolled: 2-line block ×4, first 2 shown]
	v_sub_nc_u16 v20, v3, v44
	v_lshlrev_b32_e32 v45, 3, v45
	s_waitcnt lgkmcnt(0)
	s_barrier
	buffer_gl0_inv
	v_and_b32_e32 v36, 0xff, v20
	s_clause 0x1
	global_load_dwordx4 v[12:15], v45, s[6:7] offset:80
	global_load_dwordx4 v[16:19], v32, s[6:7] offset:80
	v_and_b32_e32 v28, 0xffff, v56
	v_mul_u32_u24_e32 v20, 3, v36
	v_mad_u32_u24 v38, v28, 60, v62
	v_lshlrev_b32_e32 v24, 3, v20
	s_clause 0x3
	global_load_dwordx4 v[20:23], v24, s[6:7] offset:80
	global_load_dwordx2 v[48:49], v45, s[6:7] offset:96
	global_load_dwordx2 v[50:51], v32, s[6:7] offset:96
	;; [unrolled: 1-line block ×3, first 2 shown]
	v_and_b32_e32 v24, 0xffff, v55
	v_and_b32_e32 v32, 0xffff, v58
	ds_read2_b64 v[28:31], v10 offset1:240
	v_mul_u32_u24_e32 v40, 0x60, v38
	v_mad_u32_u24 v37, v24, 60, v41
	ds_read2_b64 v[24:27], v57 offset1:240
	v_mad_u32_u24 v32, v32, 60, v36
	v_add3_u32 v54, 0, v40, v9
	v_mul_u32_u24_e32 v37, 0x60, v37
	v_mul_u32_u24_e32 v32, 0x60, v32
	v_add3_u32 v2, 0, v37, v9
	ds_read2_b64 v[36:39], v6 offset1:240
	ds_read2_b64 v[40:43], v8 offset1:240
	;; [unrolled: 1-line block ×3, first 2 shown]
	v_add3_u32 v9, 0, v32, v9
	v_add_nc_u32_e32 v32, 0xa00, v54
	v_add_nc_u32_e32 v55, 0xa00, v2
	s_waitcnt vmcnt(5) lgkmcnt(3)
	v_mul_f32_e32 v56, v13, v27
	v_mul_f32_e32 v57, v13, v26
	;; [unrolled: 1-line block ×4, first 2 shown]
	s_waitcnt vmcnt(4)
	v_mul_f32_e32 v15, v19, v31
	v_fma_f32 v26, v12, v26, -v56
	v_fmac_f32_e32 v57, v12, v27
	v_fma_f32 v27, v14, v28, -v13
	v_fmac_f32_e32 v58, v14, v29
	v_mul_f32_e32 v19, v19, v30
	s_waitcnt lgkmcnt(2)
	v_mul_f32_e32 v28, v17, v37
	v_mul_f32_e32 v17, v17, v36
	v_fma_f32 v29, v18, v30, -v15
	ds_read_b64 v[12:13], v4
	ds_read_b64 v[14:15], v5
	v_fmac_f32_e32 v19, v18, v31
	v_fma_f32 v18, v16, v36, -v28
	v_fmac_f32_e32 v17, v16, v37
	s_waitcnt vmcnt(3)
	v_mul_f32_e32 v16, v39, v21
	v_mul_f32_e32 v21, v38, v21
	s_waitcnt vmcnt(2) lgkmcnt(3)
	v_mul_f32_e32 v28, v49, v43
	v_mul_f32_e32 v30, v49, v42
	s_waitcnt vmcnt(1) lgkmcnt(2)
	v_mul_f32_e32 v31, v44, v51
	v_fma_f32 v16, v38, v20, -v16
	v_fmac_f32_e32 v21, v39, v20
	v_mul_f32_e32 v20, v45, v51
	v_mul_f32_e32 v36, v41, v23
	;; [unrolled: 1-line block ×3, first 2 shown]
	s_waitcnt vmcnt(0)
	v_mul_f32_e32 v37, v47, v53
	v_mul_f32_e32 v38, v46, v53
	v_fma_f32 v28, v48, v42, -v28
	v_fmac_f32_e32 v30, v48, v43
	v_fma_f32 v20, v44, v50, -v20
	v_fmac_f32_e32 v31, v45, v50
	;; [unrolled: 2-line block ×4, first 2 shown]
	s_waitcnt lgkmcnt(1)
	v_sub_f32_e32 v27, v12, v27
	v_sub_f32_e32 v37, v13, v58
	;; [unrolled: 1-line block ×4, first 2 shown]
	s_waitcnt lgkmcnt(0)
	v_sub_f32_e32 v29, v14, v29
	v_sub_f32_e32 v39, v15, v19
	;; [unrolled: 1-line block ×8, first 2 shown]
	v_fma_f32 v38, v12, 2.0, -v27
	v_fma_f32 v40, v13, 2.0, -v37
	v_fma_f32 v26, v26, 2.0, -v28
	v_fma_f32 v41, v57, 2.0, -v30
	v_sub_f32_e32 v12, v27, v30
	v_add_f32_e32 v13, v37, v28
	v_fma_f32 v42, v14, 2.0, -v29
	v_fma_f32 v43, v15, 2.0, -v39
	;; [unrolled: 1-line block ×8, first 2 shown]
	v_add_f32_e32 v15, v39, v19
	v_sub_f32_e32 v16, v31, v23
	v_sub_f32_e32 v18, v38, v26
	;; [unrolled: 1-line block ×4, first 2 shown]
	v_add_f32_e32 v17, v36, v22
	v_sub_f32_e32 v22, v42, v28
	v_sub_f32_e32 v23, v43, v30
	v_fma_f32 v20, v27, 2.0, -v12
	v_sub_f32_e32 v26, v44, v46
	v_sub_f32_e32 v27, v45, v47
	v_fma_f32 v21, v37, 2.0, -v13
	v_fma_f32 v28, v31, 2.0, -v16
	;; [unrolled: 1-line block ×11, first 2 shown]
	v_add_nc_u32_e32 v56, 0xa00, v9
	s_barrier
	buffer_gl0_inv
	ds_write2_b64 v55, v[18:19], v[12:13] offset0:40 offset1:220
	ds_write2_b64 v2, v[30:31], v[20:21] offset1:180
	ds_write2_b64 v54, v[36:37], v[24:25] offset1:180
	ds_write2_b64 v32, v[22:23], v[14:15] offset0:40 offset1:220
	ds_write2_b64 v9, v[38:39], v[28:29] offset1:180
	ds_write2_b64 v56, v[26:27], v[16:17] offset0:40 offset1:220
	s_waitcnt lgkmcnt(0)
	s_barrier
	buffer_gl0_inv
	s_and_saveexec_b32 s1, s0
	s_cbranch_execz .LBB0_22
; %bb.21:
	v_lshrrev_b16 v2, 13, v11
	v_subrev_nc_u32_e32 v9, 40, v35
	v_cmp_gt_u32_e32 vcc_lo, 0x1e0, v0
	v_mov_b32_e32 v12, 0
	v_subrev_nc_u32_e32 v15, 60, v35
	v_mul_lo_u16 v11, v2, 60
	s_load_dwordx2 s[0:1], s[4:5], 0x8
	v_cndmask_b32_e32 v53, v9, v34, vcc_lo
	v_cmp_gt_u32_e32 vcc_lo, 0x2d0, v0
	v_mov_b32_e32 v56, 3
	v_sub_nc_u16 v9, v3, v11
	v_lshl_add_u32 v11, v53, 1, v53
	v_cndmask_b32_e32 v55, v15, v35, vcc_lo
	v_add_nc_u32_e32 v25, 0x78, v53
	v_and_b32_e32 v54, 0xff, v9
	v_lshlrev_b64 v[13:14], 3, v[11:12]
	v_mul_i32_i24_e32 v11, 3, v55
	v_mul_u32_u24_e32 v9, 3, v54
	v_add_co_u32 v15, vcc_lo, s6, v13
	v_add_co_ci_u32_e32 v16, vcc_lo, s7, v14, vcc_lo
	v_lshlrev_b64 v[11:12], 3, v[11:12]
	v_lshlrev_b32_e32 v9, 3, v9
	s_clause 0x1
	global_load_dwordx2 v[31:32], v[15:16], off offset:456
	global_load_dwordx2 v[39:40], v9, s[6:7] offset:456
	v_add_co_u32 v23, vcc_lo, s6, v11
	v_add_co_ci_u32_e32 v24, vcc_lo, s7, v12, vcc_lo
	s_clause 0x2
	global_load_dwordx4 v[11:14], v[23:24], off offset:440
	global_load_dwordx4 v[15:18], v[15:16], off offset:440
	global_load_dwordx4 v[19:22], v9, s[6:7] offset:440
	v_add_nc_u32_e32 v9, 0xb4, v53
	global_load_dwordx2 v[41:42], v[23:24], off offset:456
	v_mul_lo_u32 v23, v1, v25
	v_cmp_lt_u32_e32 vcc_lo, 0x2cf, v0
	v_mul_lo_u32 v9, v1, v9
	v_bfe_u32 v25, v23, 8, 8
	v_bfe_u32 v24, v9, 8, 8
	v_lshlrev_b32_sdwa v9, v56, v9 dst_sel:DWORD dst_unused:UNUSED_PAD src0_sel:DWORD src1_sel:BYTE_0
	v_lshl_or_b32 v24, v24, 3, 0x800
	s_waitcnt lgkmcnt(0)
	s_clause 0x1
	global_load_dwordx2 v[43:44], v9, s[0:1]
	global_load_dwordx2 v[45:46], v24, s[0:1]
	v_lshlrev_b32_sdwa v9, v56, v23 dst_sel:DWORD dst_unused:UNUSED_PAD src0_sel:DWORD src1_sel:BYTE_0
	v_lshl_or_b32 v23, v25, 3, 0x800
	s_clause 0x1
	global_load_dwordx2 v[47:48], v9, s[0:1]
	global_load_dwordx2 v[49:50], v23, s[0:1]
	ds_read2_b64 v[23:26], v7 offset1:240
	v_add_nc_u32_e32 v7, 0x1680, v4
	ds_read_b64 v[51:52], v7
	ds_read2_b64 v[27:30], v10 offset1:240
	ds_read2_b64 v[7:10], v8 offset1:240
	s_waitcnt vmcnt(9) lgkmcnt(3)
	v_mul_f32_e32 v35, v24, v32
	v_mul_f32_e32 v32, v23, v32
	s_waitcnt vmcnt(8)
	v_mul_f32_e32 v57, v26, v40
	v_mul_f32_e32 v40, v25, v40
	v_fma_f32 v58, v23, v31, -v35
	ds_read2_b64 v[35:38], v6 offset1:240
	v_add_nc_u32_e32 v6, 60, v53
	v_fmac_f32_e32 v32, v24, v31
	v_fma_f32 v31, v25, v39, -v57
	v_fmac_f32_e32 v40, v26, v39
	s_waitcnt vmcnt(7) lgkmcnt(3)
	v_mul_f32_e32 v26, v12, v52
	v_mul_f32_e32 v39, v12, v51
	v_mul_lo_u32 v6, v1, v6
	v_add_nc_u32_e32 v12, 60, v55
	v_add_nc_u32_e32 v24, 0xb4, v55
	v_fma_f32 v51, v11, v51, -v26
	v_fmac_f32_e32 v39, v11, v52
	s_waitcnt lgkmcnt(2)
	v_mul_f32_e32 v11, v14, v28
	v_mul_f32_e32 v52, v14, v27
	v_mul_lo_u32 v26, v1, v12
	s_waitcnt vmcnt(6)
	v_mul_f32_e32 v12, v18, v30
	v_mul_lo_u32 v23, v1, v53
	v_fma_f32 v57, v13, v27, -v11
	v_bfe_u32 v11, v6, 8, 8
	v_lshlrev_b32_sdwa v6, v56, v6 dst_sel:DWORD dst_unused:UNUSED_PAD src0_sel:DWORD src1_sel:BYTE_0
	v_fmac_f32_e32 v52, v13, v28
	v_fma_f32 v60, v17, v29, -v12
	v_mul_f32_e32 v59, v18, v29
	v_lshl_or_b32 v13, v11, 3, 0x800
	s_clause 0x1
	global_load_dwordx2 v[11:12], v6, s[0:1]
	global_load_dwordx2 v[13:14], v13, s[0:1]
	v_add_nc_u32_e32 v25, 0x78, v55
	v_mul_lo_u32 v24, v1, v24
	v_fmac_f32_e32 v59, v17, v30
	s_waitcnt lgkmcnt(0)
	v_mul_f32_e32 v17, v16, v36
	v_mul_f32_e32 v61, v16, v35
	v_bfe_u32 v18, v23, 8, 8
	v_mul_lo_u32 v25, v1, v25
	v_lshlrev_b32_sdwa v6, v56, v23 dst_sel:DWORD dst_unused:UNUSED_PAD src0_sel:DWORD src1_sel:BYTE_0
	v_fma_f32 v35, v15, v35, -v17
	v_fmac_f32_e32 v61, v15, v36
	s_waitcnt vmcnt(7)
	v_mul_f32_e32 v15, v38, v20
	v_mul_f32_e32 v36, v37, v20
	v_bfe_u32 v16, v24, 8, 8
	v_lshl_or_b32 v18, v18, 3, 0x800
	v_lshlrev_b32_sdwa v23, v56, v24 dst_sel:DWORD dst_unused:UNUSED_PAD src0_sel:DWORD src1_sel:BYTE_0
	v_bfe_u32 v20, v25, 8, 8
	v_fma_f32 v37, v37, v19, -v15
	v_fmac_f32_e32 v36, v38, v19
	v_mul_f32_e32 v38, v7, v22
	v_mul_f32_e32 v19, v8, v22
	v_lshl_or_b32 v22, v16, 3, 0x800
	s_clause 0x1
	global_load_dwordx2 v[15:16], v6, s[0:1]
	global_load_dwordx2 v[17:18], v18, s[0:1]
	v_lshlrev_b32_sdwa v24, v56, v25 dst_sel:DWORD dst_unused:UNUSED_PAD src0_sel:DWORD src1_sel:BYTE_0
	v_fmac_f32_e32 v38, v8, v21
	v_fma_f32 v62, v7, v21, -v19
	s_waitcnt vmcnt(8)
	v_mul_f32_e32 v8, v42, v10
	v_lshl_or_b32 v21, v20, 3, 0x800
	s_clause 0x1
	global_load_dwordx2 v[6:7], v23, s[0:1]
	global_load_dwordx2 v[19:20], v22, s[0:1]
	v_mul_f32_e32 v42, v42, v9
	v_mul_lo_u32 v53, v1, v55
	v_fma_f32 v63, v41, v9, -v8
	s_clause 0x1
	global_load_dwordx2 v[8:9], v24, s[0:1]
	global_load_dwordx2 v[21:22], v21, s[0:1]
	s_waitcnt vmcnt(10)
	v_mul_f32_e32 v23, v44, v46
	v_fmac_f32_e32 v42, v41, v10
	v_bfe_u32 v10, v26, 8, 8
	v_lshlrev_b32_sdwa v24, v56, v26 dst_sel:DWORD dst_unused:UNUSED_PAD src0_sel:DWORD src1_sel:BYTE_0
	v_mul_f32_e32 v41, v43, v46
	v_bfe_u32 v27, v53, 8, 8
	v_fma_f32 v43, v43, v45, -v23
	v_lshl_or_b32 v10, v10, 3, 0x800
	s_clause 0x1
	global_load_dwordx2 v[23:24], v24, s[0:1]
	global_load_dwordx2 v[25:26], v10, s[0:1]
	s_waitcnt vmcnt(10)
	v_mul_f32_e32 v28, v48, v50
	v_lshlrev_b32_sdwa v10, v56, v53 dst_sel:DWORD dst_unused:UNUSED_PAD src0_sel:DWORD src1_sel:BYTE_0
	v_lshl_or_b32 v29, v27, 3, 0x800
	v_fmac_f32_e32 v41, v44, v45
	v_mul_f32_e32 v44, v47, v50
	v_fma_f32 v45, v47, v49, -v28
	s_clause 0x1
	global_load_dwordx2 v[27:28], v10, s[0:1]
	global_load_dwordx2 v[29:30], v29, s[0:1]
	v_fmac_f32_e32 v44, v48, v49
	s_waitcnt vmcnt(10)
	v_mul_f32_e32 v10, v12, v14
	v_mul_f32_e32 v46, v11, v14
	v_mul_lo_u32 v14, v1, v54
	v_fma_f32 v47, v11, v13, -v10
	v_add_nc_u32_e32 v10, 0xb4, v54
	v_add_nc_u32_e32 v11, 0x78, v54
	v_fmac_f32_e32 v46, v12, v13
	v_add_nc_u32_e32 v12, 60, v54
	v_mul_lo_u32 v10, v1, v10
	v_mul_lo_u32 v13, v1, v11
	;; [unrolled: 1-line block ×3, first 2 shown]
	v_lshlrev_b32_sdwa v12, v56, v10 dst_sel:DWORD dst_unused:UNUSED_PAD src0_sel:DWORD src1_sel:BYTE_0
	v_bfe_u32 v10, v10, 8, 8
	s_waitcnt vmcnt(8)
	v_mul_f32_e32 v11, v16, v18
	v_mul_f32_e32 v48, v15, v18
	v_lshlrev_b32_sdwa v18, v56, v14 dst_sel:DWORD dst_unused:UNUSED_PAD src0_sel:DWORD src1_sel:BYTE_0
	v_lshl_or_b32 v10, v10, 3, 0x800
	v_bfe_u32 v14, v14, 8, 8
	v_fma_f32 v49, v15, v17, -v11
	s_waitcnt vmcnt(6)
	v_mul_f32_e32 v11, v7, v20
	v_mul_f32_e32 v50, v6, v20
	v_bfe_u32 v15, v13, 8, 8
	v_fmac_f32_e32 v48, v16, v17
	s_waitcnt vmcnt(4)
	v_mul_f32_e32 v16, v9, v22
	v_fma_f32 v53, v6, v19, -v11
	v_fmac_f32_e32 v50, v7, v19
	v_mul_f32_e32 v54, v8, v22
	s_clause 0x1
	global_load_dwordx2 v[6:7], v12, s[0:1]
	global_load_dwordx2 v[10:11], v10, s[0:1]
	v_lshlrev_b32_sdwa v12, v56, v13 dst_sel:DWORD dst_unused:UNUSED_PAD src0_sel:DWORD src1_sel:BYTE_0
	v_lshl_or_b32 v13, v15, 3, 0x800
	v_fma_f32 v64, v8, v21, -v16
	v_fmac_f32_e32 v54, v9, v21
	s_clause 0x1
	global_load_dwordx2 v[8:9], v12, s[0:1]
	global_load_dwordx2 v[12:13], v13, s[0:1]
	v_lshlrev_b32_sdwa v15, v56, v1 dst_sel:DWORD dst_unused:UNUSED_PAD src0_sel:DWORD src1_sel:BYTE_0
	v_bfe_u32 v1, v1, 8, 8
	s_waitcnt vmcnt(6)
	v_mul_f32_e32 v16, v24, v26
	v_lshl_or_b32 v20, v14, 3, 0x800
	v_mul_f32_e32 v65, v23, v26
	v_lshl_or_b32 v1, v1, 3, 0x800
	v_fma_f32 v56, v23, v25, -v16
	s_clause 0x1
	global_load_dwordx2 v[14:15], v15, s[0:1]
	global_load_dwordx2 v[16:17], v1, s[0:1]
	s_waitcnt vmcnt(6)
	v_mul_f32_e32 v19, v28, v30
	v_fmac_f32_e32 v65, v24, v25
	v_mul_f32_e32 v66, v27, v30
	v_sub_f32_e32 v25, v35, v58
	v_fma_f32 v67, v27, v29, -v19
	s_clause 0x1
	global_load_dwordx2 v[18:19], v18, s[0:1]
	global_load_dwordx2 v[20:21], v20, s[0:1]
	v_fmac_f32_e32 v66, v28, v29
	s_lshl_b64 s[0:1], s[2:3], 3
	v_sub_f32_e32 v27, v61, v32
	s_add_u32 s0, s10, s0
	s_addc_u32 s1, s11, s1
	s_waitcnt vmcnt(6)
	v_mul_f32_e32 v1, v7, v11
	v_mul_f32_e32 v22, v6, v11
	v_fma_f32 v24, v6, v10, -v1
	s_waitcnt vmcnt(4)
	v_mul_f32_e32 v1, v9, v13
	v_fmac_f32_e32 v22, v7, v10
	v_mul_f32_e32 v26, v8, v13
	v_mad_u64_u32 v[6:7], null, s12, v33, 0
	v_fma_f32 v28, v8, v12, -v1
	v_cndmask_b32_e64 v8, 0, 0xf0, vcc_lo
	v_fmac_f32_e32 v26, v9, v12
	v_add_nc_u32_e32 v23, v55, v8
	v_mov_b32_e32 v1, v7
	s_waitcnt vmcnt(2)
	v_mul_f32_e32 v9, v15, v17
	v_mul_f32_e32 v29, v14, v17
	v_add_nc_u32_e32 v13, 60, v23
	v_mad_u64_u32 v[7:8], null, s13, v33, v[1:2]
	v_fma_f32 v30, v14, v16, -v9
	v_mad_u64_u32 v[8:9], null, s8, v23, 0
	v_mad_u64_u32 v[10:11], null, s8, v13, 0
	s_waitcnt vmcnt(0)
	v_mul_f32_e32 v1, v19, v21
	v_fmac_f32_e32 v29, v15, v16
	v_add_nc_u32_e32 v15, 0x78, v23
	v_lshlrev_b64 v[6:7], 3, v[6:7]
	v_mul_f32_e32 v55, v18, v21
	v_fma_f32 v68, v18, v20, -v1
	v_mov_b32_e32 v1, v9
	v_mov_b32_e32 v9, v11
	v_add_co_u32 v69, vcc_lo, s0, v6
	v_mad_u64_u32 v[11:12], null, s9, v23, v[1:2]
	v_mad_u64_u32 v[12:13], null, s9, v13, v[9:10]
	;; [unrolled: 1-line block ×3, first 2 shown]
	v_add_co_ci_u32_e32 v70, vcc_lo, s1, v7, vcc_lo
	v_mov_b32_e32 v9, v11
	v_fmac_f32_e32 v55, v19, v20
	v_mov_b32_e32 v11, v12
	v_add_nc_u32_e32 v12, 0xb4, v23
	v_mov_b32_e32 v1, v14
	v_lshlrev_b64 v[6:7], 3, v[8:9]
	v_lshlrev_b64 v[8:9], 3, v[10:11]
	v_mad_u64_u32 v[14:15], null, s9, v15, v[1:2]
	v_mad_u64_u32 v[15:16], null, s8, v12, 0
	v_add_co_u32 v6, vcc_lo, v69, v6
	v_add_co_ci_u32_e32 v7, vcc_lo, v70, v7, vcc_lo
	v_lshlrev_b64 v[10:11], 3, v[13:14]
	v_add_co_u32 v8, vcc_lo, v69, v8
	v_mov_b32_e32 v1, v16
	v_add_co_ci_u32_e32 v9, vcc_lo, v70, v9, vcc_lo
	v_add_co_u32 v10, vcc_lo, v69, v10
	v_mad_u64_u32 v[16:17], null, s9, v12, v[1:2]
	ds_read_b64 v[12:13], v5
	ds_read_b32 v5, v5
	ds_read_b32 v14, v4
	v_add_co_ci_u32_e32 v11, vcc_lo, v70, v11, vcc_lo
	v_cmp_lt_u32_e32 vcc_lo, 0x1df, v0
	v_cndmask_b32_e64 v0, 0, 0xb4, vcc_lo
	s_waitcnt lgkmcnt(2)
	v_sub_f32_e32 v1, v13, v59
	v_sub_f32_e32 v21, v12, v60
	v_add_f32_e32 v17, v1, v25
	v_sub_f32_e32 v18, v21, v27
	v_fma_f32 v23, v13, 2.0, -v1
	v_fma_f32 v25, v35, 2.0, -v25
	v_mul_f32_e32 v12, v17, v41
	v_mul_f32_e32 v13, v18, v41
	v_fma_f32 v1, v1, 2.0, -v17
	v_fma_f32 v12, v18, v43, -v12
	v_fmac_f32_e32 v13, v17, v43
	v_fma_f32 v17, v21, 2.0, -v18
	v_mul_f32_e32 v19, v1, v46
	v_add_nc_u32_e32 v43, v34, v0
	v_mul_f32_e32 v18, v17, v46
	v_fma_f32 v17, v17, v47, -v19
	v_add_nc_u32_e32 v19, 60, v43
	v_fmac_f32_e32 v18, v1, v47
	v_add_nc_u32_e32 v47, 0x78, v43
	v_mad_u64_u32 v[0:1], null, s8, v19, 0
	v_mad_u64_u32 v[19:20], null, s9, v19, v[1:2]
	v_fma_f32 v1, v61, 2.0, -v27
	s_waitcnt lgkmcnt(1)
	v_fma_f32 v27, v5, 2.0, -v21
	v_add_nc_u32_e32 v5, 0xf00, v4
	ds_read_b32 v32, v5
	ds_read_b64 v[20:21], v5
	ds_read_b64 v[4:5], v4
	v_sub_f32_e32 v1, v23, v1
	s_waitcnt lgkmcnt(1)
	v_sub_f32_e32 v33, v21, v38
	s_waitcnt lgkmcnt(0)
	v_sub_f32_e32 v35, v5, v52
	v_sub_f32_e32 v20, v20, v62
	;; [unrolled: 1-line block ×4, first 2 shown]
	v_fma_f32 v34, v21, 2.0, -v33
	v_fma_f32 v41, v5, 2.0, -v35
	v_sub_f32_e32 v5, v36, v40
	v_fma_f32 v40, v32, 2.0, -v20
	v_fma_f32 v31, v37, 2.0, -v4
	v_add_f32_e32 v37, v33, v4
	v_fma_f32 v14, v14, 2.0, -v38
	v_sub_f32_e32 v21, v20, v5
	v_fma_f32 v36, v36, 2.0, -v5
	v_mul_f32_e32 v4, v37, v22
	v_fma_f32 v33, v33, 2.0, -v37
	v_mul_f32_e32 v5, v21, v22
	v_sub_f32_e32 v22, v27, v25
	v_fma_f32 v32, v20, 2.0, -v21
	v_fma_f32 v4, v21, v24, -v4
	v_mul_f32_e32 v20, v1, v44
	v_sub_f32_e32 v36, v34, v36
	v_mul_f32_e32 v21, v22, v44
	v_fma_f32 v44, v23, 2.0, -v1
	v_sub_f32_e32 v23, v39, v42
	v_fma_f32 v20, v22, v45, -v20
	v_fmac_f32_e32 v5, v37, v24
	v_fmac_f32_e32 v21, v1, v45
	v_sub_f32_e32 v1, v51, v63
	v_sub_f32_e32 v45, v38, v23
	v_fma_f32 v39, v39, 2.0, -v23
	v_sub_f32_e32 v37, v40, v31
	v_mad_u64_u32 v[24:25], null, s8, v43, 0
	v_fma_f32 v42, v51, 2.0, -v1
	v_add_f32_e32 v1, v35, v1
	v_mul_f32_e32 v23, v45, v50
	v_fma_f32 v46, v27, 2.0, -v22
	v_mul_f32_e32 v31, v36, v26
	v_mul_f32_e32 v27, v37, v26
	;; [unrolled: 1-line block ×3, first 2 shown]
	v_fmac_f32_e32 v23, v1, v53
	v_fma_f32 v35, v35, 2.0, -v1
	v_mul_f32_e32 v1, v33, v29
	v_fma_f32 v26, v37, v28, -v31
	v_mul_f32_e32 v29, v32, v29
	v_fmac_f32_e32 v27, v36, v28
	v_sub_f32_e32 v50, v14, v42
	v_fma_f32 v28, v32, v30, -v1
	v_mov_b32_e32 v1, v25
	v_sub_f32_e32 v39, v41, v39
	v_fmac_f32_e32 v29, v33, v30
	v_mul_f32_e32 v25, v44, v48
	v_fma_f32 v51, v40, 2.0, -v37
	v_mad_u64_u32 v[32:33], null, s9, v43, v[1:2]
	v_fma_f32 v1, v34, 2.0, -v36
	v_mul_f32_e32 v36, v50, v54
	v_fma_f32 v37, v41, 2.0, -v39
	v_fma_f32 v41, v14, 2.0, -v50
	v_fma_f32 v22, v45, v53, -v22
	v_fma_f32 v45, v38, 2.0, -v45
	v_mul_f32_e32 v34, v46, v48
	v_fma_f32 v33, v46, v49, -v25
	v_mul_f32_e32 v25, v39, v54
	v_fmac_f32_e32 v36, v39, v64
	v_mul_f32_e32 v39, v37, v66
	v_mul_f32_e32 v40, v41, v66
	v_fmac_f32_e32 v34, v44, v49
	v_mul_f32_e32 v38, v45, v65
	v_mul_f32_e32 v44, v35, v65
	v_mad_u64_u32 v[30:31], null, s8, v47, 0
	v_lshlrev_b64 v[14:15], 3, v[15:16]
	v_fma_f32 v39, v41, v67, -v39
	v_fmac_f32_e32 v40, v37, v67
	v_fmac_f32_e32 v38, v35, v56
	v_fma_f32 v37, v45, v56, -v44
	global_store_dwordx2 v[6:7], v[39:40], off
	global_store_dwordx2 v[8:9], v[37:38], off
	v_add_co_u32 v6, vcc_lo, v69, v14
	v_fma_f32 v35, v50, v64, -v25
	v_add_co_ci_u32_e32 v7, vcc_lo, v70, v15, vcc_lo
	v_mov_b32_e32 v25, v32
	v_mov_b32_e32 v8, v31
	v_mul_f32_e32 v42, v51, v55
	global_store_dwordx2 v[10:11], v[35:36], off
	global_store_dwordx2 v[6:7], v[22:23], off
	v_lshlrev_b64 v[6:7], 3, v[24:25]
	v_mad_u64_u32 v[8:9], null, s9, v47, v[8:9]
	v_mul_f32_e32 v16, v1, v55
	v_fmac_f32_e32 v42, v1, v68
	v_mov_b32_e32 v1, v19
	v_add_nc_u32_e32 v10, 0xb4, v43
	v_add_co_u32 v6, vcc_lo, v69, v6
	v_add_co_ci_u32_e32 v7, vcc_lo, v70, v7, vcc_lo
	v_lshlrev_b64 v[0:1], 3, v[0:1]
	v_mov_b32_e32 v31, v8
	v_mad_u64_u32 v[8:9], null, s8, v10, 0
	global_store_dwordx2 v[6:7], v[33:34], off
	v_and_b32_e32 v2, 0xffff, v2
	v_add_co_u32 v0, vcc_lo, v69, v0
	v_lshlrev_b64 v[6:7], 3, v[30:31]
	v_add_co_ci_u32_e32 v1, vcc_lo, v70, v1, vcc_lo
	v_mad_u32_u24 v14, 0xb4, v2, v3
	v_fma_f32 v41, v51, v68, -v16
	global_store_dwordx2 v[0:1], v[17:18], off
	v_mov_b32_e32 v0, v9
	v_add_co_u32 v1, vcc_lo, v69, v6
	v_add_co_ci_u32_e32 v2, vcc_lo, v70, v7, vcc_lo
	v_add_nc_u32_e32 v15, 60, v14
	v_mad_u64_u32 v[6:7], null, s9, v10, v[0:1]
	v_mad_u64_u32 v[10:11], null, s8, v14, 0
	global_store_dwordx2 v[1:2], v[20:21], off
	v_add_nc_u32_e32 v17, 0x78, v14
	v_mad_u64_u32 v[0:1], null, s8, v15, 0
	v_mov_b32_e32 v9, v6
	v_add_nc_u32_e32 v18, 0xb4, v14
	v_mov_b32_e32 v2, v11
	v_mad_u64_u32 v[6:7], null, s8, v17, 0
	v_lshlrev_b64 v[8:9], 3, v[8:9]
	v_mad_u64_u32 v[2:3], null, s9, v14, v[2:3]
	v_mov_b32_e32 v3, v7
	v_add_co_u32 v7, vcc_lo, v69, v8
	v_add_co_ci_u32_e32 v8, vcc_lo, v70, v9, vcc_lo
	v_mad_u64_u32 v[14:15], null, s9, v15, v[1:2]
	v_mad_u64_u32 v[15:16], null, s8, v18, 0
	v_mov_b32_e32 v11, v2
	v_mad_u64_u32 v[2:3], null, s9, v17, v[3:4]
	global_store_dwordx2 v[7:8], v[12:13], off
	v_mov_b32_e32 v1, v14
	v_lshlrev_b64 v[8:9], 3, v[10:11]
	v_mov_b32_e32 v3, v16
	v_mov_b32_e32 v7, v2
	v_lshlrev_b64 v[0:1], 3, v[0:1]
	v_mad_u64_u32 v[10:11], null, s9, v18, v[3:4]
	v_add_co_u32 v2, vcc_lo, v69, v8
	v_lshlrev_b64 v[6:7], 3, v[6:7]
	v_add_co_ci_u32_e32 v3, vcc_lo, v70, v9, vcc_lo
	v_add_co_u32 v0, vcc_lo, v69, v0
	v_mov_b32_e32 v16, v10
	v_add_co_ci_u32_e32 v1, vcc_lo, v70, v1, vcc_lo
	v_add_co_u32 v6, vcc_lo, v69, v6
	v_lshlrev_b64 v[8:9], 3, v[15:16]
	v_add_co_ci_u32_e32 v7, vcc_lo, v70, v7, vcc_lo
	v_add_co_u32 v8, vcc_lo, v69, v8
	v_add_co_ci_u32_e32 v9, vcc_lo, v70, v9, vcc_lo
	global_store_dwordx2 v[2:3], v[41:42], off
	global_store_dwordx2 v[0:1], v[28:29], off
	;; [unrolled: 1-line block ×4, first 2 shown]
.LBB0_22:
	s_endpgm
	.section	.rodata,"a",@progbits
	.p2align	6, 0x0
	.amdhsa_kernel fft_rtc_fwd_len240_factors_5_3_4_4_wgs_240_tpt_20_dim3_sp_ip_CI_sbcc_twdbase8_2step_dirReg
		.amdhsa_group_segment_fixed_size 0
		.amdhsa_private_segment_fixed_size 0
		.amdhsa_kernarg_size 88
		.amdhsa_user_sgpr_count 6
		.amdhsa_user_sgpr_private_segment_buffer 1
		.amdhsa_user_sgpr_dispatch_ptr 0
		.amdhsa_user_sgpr_queue_ptr 0
		.amdhsa_user_sgpr_kernarg_segment_ptr 1
		.amdhsa_user_sgpr_dispatch_id 0
		.amdhsa_user_sgpr_flat_scratch_init 0
		.amdhsa_user_sgpr_private_segment_size 0
		.amdhsa_wavefront_size32 1
		.amdhsa_uses_dynamic_stack 0
		.amdhsa_system_sgpr_private_segment_wavefront_offset 0
		.amdhsa_system_sgpr_workgroup_id_x 1
		.amdhsa_system_sgpr_workgroup_id_y 0
		.amdhsa_system_sgpr_workgroup_id_z 0
		.amdhsa_system_sgpr_workgroup_info 0
		.amdhsa_system_vgpr_workitem_id 0
		.amdhsa_next_free_vgpr 71
		.amdhsa_next_free_sgpr 26
		.amdhsa_reserve_vcc 1
		.amdhsa_reserve_flat_scratch 0
		.amdhsa_float_round_mode_32 0
		.amdhsa_float_round_mode_16_64 0
		.amdhsa_float_denorm_mode_32 3
		.amdhsa_float_denorm_mode_16_64 3
		.amdhsa_dx10_clamp 1
		.amdhsa_ieee_mode 1
		.amdhsa_fp16_overflow 0
		.amdhsa_workgroup_processor_mode 1
		.amdhsa_memory_ordered 1
		.amdhsa_forward_progress 0
		.amdhsa_shared_vgpr_count 0
		.amdhsa_exception_fp_ieee_invalid_op 0
		.amdhsa_exception_fp_denorm_src 0
		.amdhsa_exception_fp_ieee_div_zero 0
		.amdhsa_exception_fp_ieee_overflow 0
		.amdhsa_exception_fp_ieee_underflow 0
		.amdhsa_exception_fp_ieee_inexact 0
		.amdhsa_exception_int_div_zero 0
	.end_amdhsa_kernel
	.text
.Lfunc_end0:
	.size	fft_rtc_fwd_len240_factors_5_3_4_4_wgs_240_tpt_20_dim3_sp_ip_CI_sbcc_twdbase8_2step_dirReg, .Lfunc_end0-fft_rtc_fwd_len240_factors_5_3_4_4_wgs_240_tpt_20_dim3_sp_ip_CI_sbcc_twdbase8_2step_dirReg
                                        ; -- End function
	.section	.AMDGPU.csdata,"",@progbits
; Kernel info:
; codeLenInByte = 9036
; NumSgprs: 28
; NumVgprs: 71
; ScratchSize: 0
; MemoryBound: 0
; FloatMode: 240
; IeeeMode: 1
; LDSByteSize: 0 bytes/workgroup (compile time only)
; SGPRBlocks: 3
; VGPRBlocks: 8
; NumSGPRsForWavesPerEU: 28
; NumVGPRsForWavesPerEU: 71
; Occupancy: 12
; WaveLimiterHint : 1
; COMPUTE_PGM_RSRC2:SCRATCH_EN: 0
; COMPUTE_PGM_RSRC2:USER_SGPR: 6
; COMPUTE_PGM_RSRC2:TRAP_HANDLER: 0
; COMPUTE_PGM_RSRC2:TGID_X_EN: 1
; COMPUTE_PGM_RSRC2:TGID_Y_EN: 0
; COMPUTE_PGM_RSRC2:TGID_Z_EN: 0
; COMPUTE_PGM_RSRC2:TIDIG_COMP_CNT: 0
	.text
	.p2alignl 6, 3214868480
	.fill 48, 4, 3214868480
	.type	__hip_cuid_aa3a37503cd53b61,@object ; @__hip_cuid_aa3a37503cd53b61
	.section	.bss,"aw",@nobits
	.globl	__hip_cuid_aa3a37503cd53b61
__hip_cuid_aa3a37503cd53b61:
	.byte	0                               ; 0x0
	.size	__hip_cuid_aa3a37503cd53b61, 1

	.ident	"AMD clang version 19.0.0git (https://github.com/RadeonOpenCompute/llvm-project roc-6.4.0 25133 c7fe45cf4b819c5991fe208aaa96edf142730f1d)"
	.section	".note.GNU-stack","",@progbits
	.addrsig
	.addrsig_sym __hip_cuid_aa3a37503cd53b61
	.amdgpu_metadata
---
amdhsa.kernels:
  - .args:
      - .actual_access:  read_only
        .address_space:  global
        .offset:         0
        .size:           8
        .value_kind:     global_buffer
      - .address_space:  global
        .offset:         8
        .size:           8
        .value_kind:     global_buffer
      - .actual_access:  read_only
        .address_space:  global
        .offset:         16
        .size:           8
        .value_kind:     global_buffer
      - .actual_access:  read_only
        .address_space:  global
        .offset:         24
        .size:           8
        .value_kind:     global_buffer
      - .offset:         32
        .size:           8
        .value_kind:     by_value
      - .actual_access:  read_only
        .address_space:  global
        .offset:         40
        .size:           8
        .value_kind:     global_buffer
      - .actual_access:  read_only
        .address_space:  global
        .offset:         48
        .size:           8
        .value_kind:     global_buffer
      - .offset:         56
        .size:           4
        .value_kind:     by_value
      - .actual_access:  read_only
        .address_space:  global
        .offset:         64
        .size:           8
        .value_kind:     global_buffer
      - .actual_access:  read_only
        .address_space:  global
        .offset:         72
        .size:           8
        .value_kind:     global_buffer
      - .address_space:  global
        .offset:         80
        .size:           8
        .value_kind:     global_buffer
    .group_segment_fixed_size: 0
    .kernarg_segment_align: 8
    .kernarg_segment_size: 88
    .language:       OpenCL C
    .language_version:
      - 2
      - 0
    .max_flat_workgroup_size: 240
    .name:           fft_rtc_fwd_len240_factors_5_3_4_4_wgs_240_tpt_20_dim3_sp_ip_CI_sbcc_twdbase8_2step_dirReg
    .private_segment_fixed_size: 0
    .sgpr_count:     28
    .sgpr_spill_count: 0
    .symbol:         fft_rtc_fwd_len240_factors_5_3_4_4_wgs_240_tpt_20_dim3_sp_ip_CI_sbcc_twdbase8_2step_dirReg.kd
    .uniform_work_group_size: 1
    .uses_dynamic_stack: false
    .vgpr_count:     71
    .vgpr_spill_count: 0
    .wavefront_size: 32
    .workgroup_processor_mode: 1
amdhsa.target:   amdgcn-amd-amdhsa--gfx1030
amdhsa.version:
  - 1
  - 2
...

	.end_amdgpu_metadata
